;; amdgpu-corpus repo=ROCm/rocFFT kind=compiled arch=gfx906 opt=O3
	.text
	.amdgcn_target "amdgcn-amd-amdhsa--gfx906"
	.amdhsa_code_object_version 6
	.protected	fft_rtc_fwd_len70_factors_2_5_7_wgs_252_tpt_14_halfLds_dp_op_CI_CI_sbrr_dirReg ; -- Begin function fft_rtc_fwd_len70_factors_2_5_7_wgs_252_tpt_14_halfLds_dp_op_CI_CI_sbrr_dirReg
	.globl	fft_rtc_fwd_len70_factors_2_5_7_wgs_252_tpt_14_halfLds_dp_op_CI_CI_sbrr_dirReg
	.p2align	8
	.type	fft_rtc_fwd_len70_factors_2_5_7_wgs_252_tpt_14_halfLds_dp_op_CI_CI_sbrr_dirReg,@function
fft_rtc_fwd_len70_factors_2_5_7_wgs_252_tpt_14_halfLds_dp_op_CI_CI_sbrr_dirReg: ; @fft_rtc_fwd_len70_factors_2_5_7_wgs_252_tpt_14_halfLds_dp_op_CI_CI_sbrr_dirReg
; %bb.0:
	s_load_dwordx4 s[16:19], s[4:5], 0x18
	s_load_dwordx4 s[12:15], s[4:5], 0x0
	;; [unrolled: 1-line block ×3, first 2 shown]
	v_mul_u32_u24_e32 v1, 0x124a, v0
	v_lshrrev_b32_e32 v1, 16, v1
	s_waitcnt lgkmcnt(0)
	s_load_dwordx2 s[2:3], s[16:17], 0x0
	s_load_dwordx2 s[20:21], s[18:19], 0x0
	v_mad_u64_u32 v[1:2], s[0:1], s6, 18, v[1:2]
	v_mov_b32_e32 v3, 0
	v_mov_b32_e32 v6, 0
	;; [unrolled: 1-line block ×3, first 2 shown]
	v_cmp_lt_u64_e64 s[0:1], s[14:15], 2
	v_mov_b32_e32 v7, 0
	v_mov_b32_e32 v29, v7
	;; [unrolled: 1-line block ×3, first 2 shown]
	s_and_b64 vcc, exec, s[0:1]
	v_mov_b32_e32 v28, v6
	v_mov_b32_e32 v30, v1
	s_cbranch_vccnz .LBB0_8
; %bb.1:
	s_load_dwordx2 s[0:1], s[4:5], 0x10
	s_add_u32 s6, s18, 8
	s_addc_u32 s7, s19, 0
	s_add_u32 s22, s16, 8
	v_mov_b32_e32 v6, 0
	s_addc_u32 s23, s17, 0
	v_mov_b32_e32 v7, 0
	s_waitcnt lgkmcnt(0)
	s_add_u32 s24, s0, 8
	v_mov_b32_e32 v29, v7
	v_mov_b32_e32 v9, v2
	s_addc_u32 s25, s1, 0
	s_mov_b64 s[26:27], 1
	v_mov_b32_e32 v28, v6
	v_mov_b32_e32 v8, v1
.LBB0_2:                                ; =>This Inner Loop Header: Depth=1
	s_load_dwordx2 s[28:29], s[24:25], 0x0
                                        ; implicit-def: $vgpr30_vgpr31
	s_waitcnt lgkmcnt(0)
	v_or_b32_e32 v4, s29, v9
	v_cmp_ne_u64_e32 vcc, 0, v[3:4]
	s_and_saveexec_b64 s[0:1], vcc
	s_xor_b64 s[30:31], exec, s[0:1]
	s_cbranch_execz .LBB0_4
; %bb.3:                                ;   in Loop: Header=BB0_2 Depth=1
	v_cvt_f32_u32_e32 v2, s28
	v_cvt_f32_u32_e32 v4, s29
	s_sub_u32 s0, 0, s28
	s_subb_u32 s1, 0, s29
	v_mac_f32_e32 v2, 0x4f800000, v4
	v_rcp_f32_e32 v2, v2
	v_mul_f32_e32 v2, 0x5f7ffffc, v2
	v_mul_f32_e32 v4, 0x2f800000, v2
	v_trunc_f32_e32 v4, v4
	v_mac_f32_e32 v2, 0xcf800000, v4
	v_cvt_u32_f32_e32 v4, v4
	v_cvt_u32_f32_e32 v2, v2
	v_mul_lo_u32 v5, s0, v4
	v_mul_hi_u32 v10, s0, v2
	v_mul_lo_u32 v12, s1, v2
	v_mul_lo_u32 v11, s0, v2
	v_add_u32_e32 v5, v10, v5
	v_add_u32_e32 v5, v5, v12
	v_mul_hi_u32 v10, v2, v11
	v_mul_lo_u32 v12, v2, v5
	v_mul_hi_u32 v14, v2, v5
	v_mul_hi_u32 v13, v4, v11
	v_mul_lo_u32 v11, v4, v11
	v_mul_hi_u32 v15, v4, v5
	v_add_co_u32_e32 v10, vcc, v10, v12
	v_addc_co_u32_e32 v12, vcc, 0, v14, vcc
	v_mul_lo_u32 v5, v4, v5
	v_add_co_u32_e32 v10, vcc, v10, v11
	v_addc_co_u32_e32 v10, vcc, v12, v13, vcc
	v_addc_co_u32_e32 v11, vcc, 0, v15, vcc
	v_add_co_u32_e32 v5, vcc, v10, v5
	v_addc_co_u32_e32 v10, vcc, 0, v11, vcc
	v_add_co_u32_e32 v2, vcc, v2, v5
	v_addc_co_u32_e32 v4, vcc, v4, v10, vcc
	v_mul_lo_u32 v5, s0, v4
	v_mul_hi_u32 v10, s0, v2
	v_mul_lo_u32 v11, s1, v2
	v_mul_lo_u32 v12, s0, v2
	v_add_u32_e32 v5, v10, v5
	v_add_u32_e32 v5, v5, v11
	v_mul_lo_u32 v13, v2, v5
	v_mul_hi_u32 v14, v2, v12
	v_mul_hi_u32 v15, v2, v5
	;; [unrolled: 1-line block ×3, first 2 shown]
	v_mul_lo_u32 v12, v4, v12
	v_mul_hi_u32 v10, v4, v5
	v_add_co_u32_e32 v13, vcc, v14, v13
	v_addc_co_u32_e32 v14, vcc, 0, v15, vcc
	v_mul_lo_u32 v5, v4, v5
	v_add_co_u32_e32 v12, vcc, v13, v12
	v_addc_co_u32_e32 v11, vcc, v14, v11, vcc
	v_addc_co_u32_e32 v10, vcc, 0, v10, vcc
	v_add_co_u32_e32 v5, vcc, v11, v5
	v_addc_co_u32_e32 v10, vcc, 0, v10, vcc
	v_add_co_u32_e32 v2, vcc, v2, v5
	v_addc_co_u32_e32 v10, vcc, v4, v10, vcc
	v_mad_u64_u32 v[4:5], s[0:1], v8, v10, 0
	v_mul_hi_u32 v11, v8, v2
	v_add_co_u32_e32 v12, vcc, v11, v4
	v_addc_co_u32_e32 v13, vcc, 0, v5, vcc
	v_mad_u64_u32 v[4:5], s[0:1], v9, v2, 0
	v_mad_u64_u32 v[10:11], s[0:1], v9, v10, 0
	v_add_co_u32_e32 v2, vcc, v12, v4
	v_addc_co_u32_e32 v2, vcc, v13, v5, vcc
	v_addc_co_u32_e32 v4, vcc, 0, v11, vcc
	v_add_co_u32_e32 v2, vcc, v2, v10
	v_addc_co_u32_e32 v10, vcc, 0, v4, vcc
	v_mul_lo_u32 v11, s29, v2
	v_mul_lo_u32 v12, s28, v10
	v_mad_u64_u32 v[4:5], s[0:1], s28, v2, 0
	v_add3_u32 v5, v5, v12, v11
	v_sub_u32_e32 v11, v9, v5
	v_mov_b32_e32 v12, s29
	v_sub_co_u32_e32 v4, vcc, v8, v4
	v_subb_co_u32_e64 v11, s[0:1], v11, v12, vcc
	v_subrev_co_u32_e64 v12, s[0:1], s28, v4
	v_subbrev_co_u32_e64 v11, s[0:1], 0, v11, s[0:1]
	v_cmp_le_u32_e64 s[0:1], s29, v11
	v_cndmask_b32_e64 v13, 0, -1, s[0:1]
	v_cmp_le_u32_e64 s[0:1], s28, v12
	v_cndmask_b32_e64 v12, 0, -1, s[0:1]
	v_cmp_eq_u32_e64 s[0:1], s29, v11
	v_cndmask_b32_e64 v11, v13, v12, s[0:1]
	v_add_co_u32_e64 v12, s[0:1], 2, v2
	v_addc_co_u32_e64 v13, s[0:1], 0, v10, s[0:1]
	v_add_co_u32_e64 v14, s[0:1], 1, v2
	v_addc_co_u32_e64 v15, s[0:1], 0, v10, s[0:1]
	v_subb_co_u32_e32 v5, vcc, v9, v5, vcc
	v_cmp_ne_u32_e64 s[0:1], 0, v11
	v_cmp_le_u32_e32 vcc, s29, v5
	v_cndmask_b32_e64 v11, v15, v13, s[0:1]
	v_cndmask_b32_e64 v13, 0, -1, vcc
	v_cmp_le_u32_e32 vcc, s28, v4
	v_cndmask_b32_e64 v4, 0, -1, vcc
	v_cmp_eq_u32_e32 vcc, s29, v5
	v_cndmask_b32_e32 v4, v13, v4, vcc
	v_cmp_ne_u32_e32 vcc, 0, v4
	v_cndmask_b32_e64 v4, v14, v12, s[0:1]
	v_cndmask_b32_e32 v31, v10, v11, vcc
	v_cndmask_b32_e32 v30, v2, v4, vcc
.LBB0_4:                                ;   in Loop: Header=BB0_2 Depth=1
	s_andn2_saveexec_b64 s[0:1], s[30:31]
	s_cbranch_execz .LBB0_6
; %bb.5:                                ;   in Loop: Header=BB0_2 Depth=1
	v_cvt_f32_u32_e32 v2, s28
	s_sub_i32 s30, 0, s28
	v_mov_b32_e32 v31, v3
	v_rcp_iflag_f32_e32 v2, v2
	v_mul_f32_e32 v2, 0x4f7ffffe, v2
	v_cvt_u32_f32_e32 v2, v2
	v_mul_lo_u32 v4, s30, v2
	v_mul_hi_u32 v4, v2, v4
	v_add_u32_e32 v2, v2, v4
	v_mul_hi_u32 v2, v8, v2
	v_mul_lo_u32 v4, v2, s28
	v_add_u32_e32 v5, 1, v2
	v_sub_u32_e32 v4, v8, v4
	v_subrev_u32_e32 v10, s28, v4
	v_cmp_le_u32_e32 vcc, s28, v4
	v_cndmask_b32_e32 v4, v4, v10, vcc
	v_cndmask_b32_e32 v2, v2, v5, vcc
	v_add_u32_e32 v5, 1, v2
	v_cmp_le_u32_e32 vcc, s28, v4
	v_cndmask_b32_e32 v30, v2, v5, vcc
.LBB0_6:                                ;   in Loop: Header=BB0_2 Depth=1
	s_or_b64 exec, exec, s[0:1]
	v_mul_lo_u32 v2, v31, s28
	v_mul_lo_u32 v10, v30, s29
	v_mad_u64_u32 v[4:5], s[0:1], v30, s28, 0
	s_load_dwordx2 s[0:1], s[22:23], 0x0
	s_load_dwordx2 s[28:29], s[6:7], 0x0
	v_add3_u32 v2, v5, v10, v2
	v_sub_co_u32_e32 v4, vcc, v8, v4
	v_subb_co_u32_e32 v2, vcc, v9, v2, vcc
	s_waitcnt lgkmcnt(0)
	v_mul_lo_u32 v5, s0, v2
	v_mul_lo_u32 v8, s1, v4
	v_mad_u64_u32 v[6:7], s[0:1], s0, v4, v[6:7]
	s_add_u32 s26, s26, 1
	s_addc_u32 s27, s27, 0
	s_add_u32 s6, s6, 8
	v_mul_lo_u32 v2, s28, v2
	v_mul_lo_u32 v9, s29, v4
	v_mad_u64_u32 v[28:29], s[0:1], s28, v4, v[28:29]
	v_add3_u32 v7, v8, v7, v5
	s_addc_u32 s7, s7, 0
	v_mov_b32_e32 v4, s14
	s_add_u32 s22, s22, 8
	v_mov_b32_e32 v5, s15
	s_addc_u32 s23, s23, 0
	v_cmp_ge_u64_e32 vcc, s[26:27], v[4:5]
	s_add_u32 s24, s24, 8
	v_add3_u32 v29, v9, v29, v2
	s_addc_u32 s25, s25, 0
	s_cbranch_vccnz .LBB0_8
; %bb.7:                                ;   in Loop: Header=BB0_2 Depth=1
	v_mov_b32_e32 v8, v30
	v_mov_b32_e32 v9, v31
	s_branch .LBB0_2
.LBB0_8:
	s_load_dwordx2 s[0:1], s[4:5], 0x28
	s_lshl_b64 s[14:15], s[14:15], 3
	s_add_u32 s4, s18, s14
	s_addc_u32 s5, s19, s15
                                        ; implicit-def: $vgpr38
                                        ; implicit-def: $vgpr26
	s_waitcnt lgkmcnt(0)
	v_cmp_gt_u64_e32 vcc, s[0:1], v[30:31]
	v_cmp_le_u64_e64 s[0:1], s[0:1], v[30:31]
	s_and_saveexec_b64 s[6:7], s[0:1]
	s_xor_b64 s[0:1], exec, s[6:7]
; %bb.9:
	s_mov_b32 s6, 0x12492493
	v_mul_hi_u32 v2, v0, s6
                                        ; implicit-def: $vgpr6_vgpr7
	v_mul_u32_u24_e32 v2, 14, v2
	v_sub_u32_e32 v38, v0, v2
	v_add_u32_e32 v26, 14, v38
                                        ; implicit-def: $vgpr0
; %bb.10:
	s_or_saveexec_b64 s[6:7], s[0:1]
	s_load_dwordx2 s[4:5], s[4:5], 0x0
                                        ; implicit-def: $vgpr24_vgpr25
                                        ; implicit-def: $vgpr16_vgpr17
                                        ; implicit-def: $vgpr12_vgpr13
                                        ; implicit-def: $vgpr8_vgpr9
                                        ; implicit-def: $vgpr20_vgpr21
                                        ; implicit-def: $vgpr4_vgpr5
	s_xor_b64 exec, exec, s[6:7]
	s_cbranch_execz .LBB0_14
; %bb.11:
	s_add_u32 s0, s16, s14
	s_mov_b32 s14, 0x12492493
	v_mul_hi_u32 v2, v0, s14
	s_addc_u32 s1, s17, s15
	s_load_dwordx2 s[0:1], s[0:1], 0x0
	v_mul_u32_u24_e32 v2, 14, v2
	v_sub_u32_e32 v38, v0, v2
	v_mad_u64_u32 v[2:3], s[14:15], s2, v38, 0
	s_waitcnt lgkmcnt(0)
	v_mul_lo_u32 v10, s1, v30
	v_mul_lo_u32 v11, s0, v31
	v_mad_u64_u32 v[4:5], s[0:1], s0, v30, 0
	v_mov_b32_e32 v0, v3
	v_mad_u64_u32 v[8:9], s[0:1], s3, v38, v[0:1]
	v_add3_u32 v5, v5, v11, v10
	v_lshlrev_b64 v[4:5], 4, v[4:5]
	v_mov_b32_e32 v3, v8
	v_mov_b32_e32 v0, s9
	v_add_co_u32_e64 v8, s[0:1], s8, v4
	v_add_u32_e32 v10, 35, v38
	v_addc_co_u32_e64 v9, s[0:1], v0, v5, s[0:1]
	v_lshlrev_b64 v[4:5], 4, v[6:7]
	v_mad_u64_u32 v[6:7], s[0:1], s2, v10, 0
	v_add_co_u32_e64 v0, s[0:1], v8, v4
	v_mov_b32_e32 v4, v7
	v_add_u32_e32 v26, 14, v38
	v_addc_co_u32_e64 v16, s[0:1], v9, v5, s[0:1]
	v_mad_u64_u32 v[4:5], s[0:1], s3, v10, v[4:5]
	v_mad_u64_u32 v[8:9], s[0:1], s2, v26, 0
	v_lshlrev_b64 v[2:3], 4, v[2:3]
	v_mov_b32_e32 v7, v4
	v_add_co_u32_e64 v10, s[0:1], v0, v2
	v_mov_b32_e32 v4, v9
	v_addc_co_u32_e64 v11, s[0:1], v16, v3, s[0:1]
	v_mad_u64_u32 v[4:5], s[0:1], s3, v26, v[4:5]
	v_add_u32_e32 v5, 49, v38
	v_lshlrev_b64 v[2:3], 4, v[6:7]
	v_mad_u64_u32 v[6:7], s[0:1], s2, v5, 0
	v_add_co_u32_e64 v12, s[0:1], v0, v2
	v_mov_b32_e32 v9, v4
	v_mov_b32_e32 v4, v7
	v_addc_co_u32_e64 v13, s[0:1], v16, v3, s[0:1]
	v_lshlrev_b64 v[2:3], 4, v[8:9]
	v_mad_u64_u32 v[7:8], s[0:1], s3, v5, v[4:5]
	v_add_co_u32_e64 v14, s[0:1], v0, v2
	v_lshlrev_b64 v[6:7], 4, v[6:7]
	v_addc_co_u32_e64 v15, s[0:1], v16, v3, s[0:1]
	v_add_co_u32_e64 v22, s[0:1], v0, v6
	global_load_dwordx4 v[2:5], v[10:11], off
	global_load_dwordx4 v[18:21], v[12:13], off
	v_addc_co_u32_e64 v23, s[0:1], v16, v7, s[0:1]
	global_load_dwordx4 v[6:9], v[14:15], off
	global_load_dwordx4 v[10:13], v[22:23], off
	v_cmp_gt_u32_e64 s[0:1], 7, v38
                                        ; implicit-def: $vgpr14_vgpr15
                                        ; implicit-def: $vgpr22_vgpr23
	s_and_saveexec_b64 s[8:9], s[0:1]
	s_cbranch_execz .LBB0_13
; %bb.12:
	v_add_u32_e32 v17, 28, v38
	v_mad_u64_u32 v[14:15], s[0:1], s2, v17, 0
	v_add_u32_e32 v27, 63, v38
	v_mad_u64_u32 v[22:23], s[0:1], s2, v27, 0
	v_mad_u64_u32 v[24:25], s[0:1], s3, v17, v[15:16]
	v_mov_b32_e32 v17, v23
	v_mov_b32_e32 v15, v24
	s_waitcnt vmcnt(2)
	v_mad_u64_u32 v[23:24], s[0:1], s3, v27, v[17:18]
	v_lshlrev_b64 v[14:15], 4, v[14:15]
	v_add_co_u32_e64 v32, s[0:1], v0, v14
	v_addc_co_u32_e64 v33, s[0:1], v16, v15, s[0:1]
	v_lshlrev_b64 v[14:15], 4, v[22:23]
	v_add_co_u32_e64 v34, s[0:1], v0, v14
	v_addc_co_u32_e64 v35, s[0:1], v16, v15, s[0:1]
	global_load_dwordx4 v[14:17], v[32:33], off
	global_load_dwordx4 v[22:25], v[34:35], off
.LBB0_13:
	s_or_b64 exec, exec, s[8:9]
.LBB0_14:
	s_or_b64 exec, exec, s[6:7]
	s_waitcnt vmcnt(2)
	v_add_f64 v[34:35], v[2:3], -v[18:19]
	s_waitcnt vmcnt(0)
	v_add_f64 v[44:45], v[6:7], -v[10:11]
	s_mov_b32 s0, 0x38e38e39
	v_mul_hi_u32 v0, v1, s0
	v_lshl_add_u32 v10, v38, 4, 0
	v_lshl_add_u32 v11, v26, 4, 0
	v_cmp_gt_u32_e64 s[0:1], 7, v38
	v_lshrrev_b32_e32 v0, 2, v0
	v_mul_lo_u32 v0, v0, 18
	v_fma_f64 v[32:33], v[2:3], 2.0, -v[34:35]
	v_add_f64 v[2:3], v[14:15], -v[22:23]
	v_fma_f64 v[42:43], v[6:7], 2.0, -v[44:45]
	v_sub_u32_e32 v0, v1, v0
	v_mul_u32_u24_e32 v0, 0x46, v0
	v_lshlrev_b32_e32 v41, 3, v0
	v_add_u32_e32 v0, 28, v38
	v_add_u32_e32 v23, v10, v41
	;; [unrolled: 1-line block ×3, first 2 shown]
	v_lshlrev_b32_e32 v19, 4, v0
	ds_write_b128 v23, v[32:35]
	ds_write_b128 v22, v[42:45]
	s_and_saveexec_b64 s[2:3], s[0:1]
	s_cbranch_execz .LBB0_16
; %bb.15:
	v_fma_f64 v[0:1], v[14:15], 2.0, -v[2:3]
	v_add3_u32 v6, 0, v19, v41
	ds_write_b128 v6, v[0:3]
.LBB0_16:
	s_or_b64 exec, exec, s[2:3]
	v_add_f64 v[34:35], v[4:5], -v[20:21]
	v_add_f64 v[44:45], v[8:9], -v[12:13]
	v_lshlrev_b32_e32 v0, 3, v38
	v_lshlrev_b32_e32 v1, 3, v26
	v_sub_u32_e32 v1, v11, v1
	v_add3_u32 v40, 0, v41, v0
	v_sub_u32_e32 v0, v10, v0
	v_add_f64 v[6:7], v[16:17], -v[24:25]
	v_fma_f64 v[32:33], v[4:5], 2.0, -v[34:35]
	s_waitcnt lgkmcnt(0)
	s_barrier
	v_add_u32_e32 v18, v1, v41
	v_add_u32_e32 v39, v0, v41
	v_fma_f64 v[42:43], v[8:9], 2.0, -v[44:45]
	ds_read_b64 v[0:1], v40
	ds_read_b64 v[14:15], v18
	ds_read_b64 v[12:13], v39 offset:448
	ds_read2_b64 v[8:11], v39 offset0:28 offset1:42
	s_waitcnt lgkmcnt(0)
	s_barrier
	ds_write_b128 v23, v[32:35]
	ds_write_b128 v22, v[42:45]
	s_and_saveexec_b64 s[2:3], s[0:1]
	s_cbranch_execz .LBB0_18
; %bb.17:
	v_fma_f64 v[4:5], v[16:17], 2.0, -v[6:7]
	v_add3_u32 v16, 0, v19, v41
	ds_write_b128 v16, v[4:7]
.LBB0_18:
	s_or_b64 exec, exec, s[2:3]
	v_and_b32_e32 v58, 1, v38
	v_lshlrev_b32_e32 v4, 6, v58
	s_waitcnt lgkmcnt(0)
	s_barrier
	global_load_dwordx4 v[19:22], v4, s[12:13]
	global_load_dwordx4 v[42:45], v4, s[12:13] offset:16
	global_load_dwordx4 v[46:49], v4, s[12:13] offset:32
	;; [unrolled: 1-line block ×3, first 2 shown]
	ds_read2_b64 v[54:57], v39 offset0:28 offset1:42
	ds_read_b64 v[4:5], v39 offset:448
	ds_read_b64 v[23:24], v18
	s_mov_b32 s2, 0x134454ff
	s_mov_b32 s3, 0x3fee6f0e
	;; [unrolled: 1-line block ×10, first 2 shown]
	ds_read_b64 v[16:17], v40
	v_cmp_gt_u32_e64 s[0:1], 10, v38
	s_waitcnt vmcnt(0) lgkmcnt(0)
	s_barrier
	v_mul_f64 v[25:26], v[23:24], v[21:22]
	v_mul_f64 v[32:33], v[54:55], v[44:45]
	;; [unrolled: 1-line block ×8, first 2 shown]
	v_fma_f64 v[26:27], v[14:15], v[19:20], -v[25:26]
	v_fma_f64 v[32:33], v[8:9], v[42:43], -v[32:33]
	v_fma_f64 v[34:35], v[10:11], v[46:47], -v[34:35]
	v_fma_f64 v[36:37], v[12:13], v[50:51], -v[36:37]
	v_fma_f64 v[24:25], v[23:24], v[19:20], v[21:22]
	v_fma_f64 v[18:19], v[54:55], v[42:43], v[44:45]
	;; [unrolled: 1-line block ×4, first 2 shown]
	v_add_f64 v[22:23], v[0:1], v[26:27]
	v_add_f64 v[44:45], v[32:33], -v[26:27]
	v_add_f64 v[4:5], v[32:33], v[34:35]
	v_add_f64 v[8:9], v[26:27], v[36:37]
	v_add_f64 v[42:43], v[36:37], -v[34:35]
	v_add_f64 v[46:47], v[34:35], -v[36:37]
	;; [unrolled: 1-line block ×4, first 2 shown]
	v_add_f64 v[22:23], v[22:23], v[32:33]
	v_fma_f64 v[4:5], v[4:5], -0.5, v[0:1]
	v_fma_f64 v[0:1], v[8:9], -0.5, v[0:1]
	v_add_f64 v[8:9], v[26:27], -v[32:33]
	v_add_f64 v[44:45], v[44:45], v[46:47]
	v_fma_f64 v[48:49], v[10:11], s[2:3], v[4:5]
	v_fma_f64 v[50:51], v[20:21], s[6:7], v[0:1]
	;; [unrolled: 1-line block ×4, first 2 shown]
	v_add_f64 v[42:43], v[8:9], v[42:43]
	v_add_f64 v[8:9], v[22:23], v[34:35]
	v_fma_f64 v[22:23], v[20:21], s[14:15], v[48:49]
	v_fma_f64 v[46:47], v[10:11], s[14:15], v[50:51]
	;; [unrolled: 1-line block ×4, first 2 shown]
	v_lshrrev_b32_e32 v0, 1, v38
	v_mul_u32_u24_e32 v0, 10, v0
	v_or_b32_e32 v50, v0, v58
	v_add_f64 v[0:1], v[8:9], v[36:37]
	v_fma_f64 v[8:9], v[42:43], s[8:9], v[22:23]
	v_fma_f64 v[10:11], v[44:45], s[8:9], v[46:47]
	;; [unrolled: 1-line block ×4, first 2 shown]
	v_lshlrev_b32_e32 v4, 3, v50
	v_add3_u32 v41, 0, v4, v41
	ds_write2_b64 v41, v[0:1], v[8:9] offset1:2
	ds_write2_b64 v41, v[10:11], v[20:21] offset0:4 offset1:6
	ds_write_b64 v41, v[22:23] offset:64
	s_waitcnt lgkmcnt(0)
	s_barrier
	s_waitcnt lgkmcnt(0)
                                        ; implicit-def: $vgpr4_vgpr5
	s_and_saveexec_b64 s[18:19], s[0:1]
	s_cbranch_execz .LBB0_20
; %bb.19:
	ds_read_b64 v[0:1], v40
	ds_read2_b64 v[8:11], v39 offset0:10 offset1:20
	ds_read2_b64 v[2:5], v39 offset0:50 offset1:60
	;; [unrolled: 1-line block ×3, first 2 shown]
.LBB0_20:
	s_or_b64 exec, exec, s[18:19]
	v_add_f64 v[42:43], v[18:19], v[14:15]
	v_add_f64 v[44:45], v[24:25], v[12:13]
	;; [unrolled: 1-line block ×3, first 2 shown]
	v_add_f64 v[26:27], v[26:27], -v[36:37]
	v_add_f64 v[32:33], v[32:33], -v[34:35]
	;; [unrolled: 1-line block ×4, first 2 shown]
	s_waitcnt lgkmcnt(0)
	v_fma_f64 v[34:35], v[42:43], -0.5, v[16:17]
	v_fma_f64 v[16:17], v[44:45], -0.5, v[16:17]
	v_add_f64 v[42:43], v[12:13], -v[14:15]
	v_add_f64 v[44:45], v[14:15], -v[12:13]
	v_add_f64 v[18:19], v[46:47], v[18:19]
	s_barrier
	v_fma_f64 v[46:47], v[26:27], s[6:7], v[34:35]
	v_fma_f64 v[48:49], v[32:33], s[2:3], v[16:17]
	;; [unrolled: 1-line block ×4, first 2 shown]
	v_add_f64 v[36:37], v[36:37], v[42:43]
	v_add_f64 v[24:25], v[24:25], v[44:45]
	;; [unrolled: 1-line block ×3, first 2 shown]
	v_fma_f64 v[18:19], v[32:33], s[16:17], v[46:47]
	v_fma_f64 v[42:43], v[26:27], s[16:17], v[48:49]
	;; [unrolled: 1-line block ×4, first 2 shown]
	v_add_f64 v[32:33], v[14:15], v[12:13]
	v_fma_f64 v[12:13], v[36:37], s[8:9], v[18:19]
	v_fma_f64 v[14:15], v[24:25], s[8:9], v[42:43]
	;; [unrolled: 1-line block ×4, first 2 shown]
                                        ; implicit-def: $vgpr18_vgpr19
	ds_write2_b64 v41, v[32:33], v[12:13] offset1:2
	ds_write2_b64 v41, v[14:15], v[24:25] offset0:4 offset1:6
	ds_write_b64 v41, v[26:27] offset:64
	s_waitcnt lgkmcnt(0)
	s_barrier
	s_and_saveexec_b64 s[2:3], s[0:1]
	s_cbranch_execz .LBB0_22
; %bb.21:
	ds_read_b64 v[32:33], v40
	ds_read2_b64 v[12:15], v39 offset0:10 offset1:20
	ds_read2_b64 v[16:19], v39 offset0:50 offset1:60
	;; [unrolled: 1-line block ×3, first 2 shown]
	s_waitcnt lgkmcnt(1)
	v_mov_b32_e32 v6, v16
	v_mov_b32_e32 v7, v17
.LBB0_22:
	s_or_b64 exec, exec, s[2:3]
	v_cmp_gt_u32_e64 s[2:3], 10, v38
	s_and_b64 s[2:3], vcc, s[2:3]
	s_and_saveexec_b64 s[6:7], s[2:3]
	s_cbranch_execz .LBB0_24
; %bb.23:
	v_add_u32_e32 v16, -10, v38
	v_cndmask_b32_e64 v16, v16, v38, s[0:1]
	v_mul_i32_i24_e32 v16, 6, v16
	v_mov_b32_e32 v17, 0
	v_lshlrev_b64 v[16:17], 4, v[16:17]
	v_mov_b32_e32 v34, s13
	v_add_co_u32_e32 v16, vcc, s12, v16
	v_addc_co_u32_e32 v17, vcc, v34, v17, vcc
	global_load_dwordx4 v[34:37], v[16:17], off offset:176
	global_load_dwordx4 v[39:42], v[16:17], off offset:160
	v_mul_lo_u32 v51, s5, v30
	v_mul_lo_u32 v31, s4, v31
	s_mov_b32 s12, 0x37e14327
	s_mov_b32 s6, 0x36b3c0b5
	;; [unrolled: 1-line block ×12, first 2 shown]
	v_mov_b32_e32 v56, s11
	v_lshlrev_b64 v[28:29], 4, v[28:29]
	s_waitcnt vmcnt(1) lgkmcnt(0)
	v_mul_f64 v[43:44], v[26:27], v[36:37]
	s_waitcnt vmcnt(0)
	v_mul_f64 v[45:46], v[24:25], v[41:42]
	v_mul_f64 v[41:42], v[20:21], v[41:42]
	;; [unrolled: 1-line block ×3, first 2 shown]
	v_fma_f64 v[43:44], v[22:23], v[34:35], -v[43:44]
	v_fma_f64 v[45:46], v[20:21], v[39:40], -v[45:46]
	global_load_dwordx4 v[20:23], v[16:17], off offset:192
	v_fma_f64 v[47:48], v[24:25], v[39:40], v[41:42]
	v_fma_f64 v[49:50], v[26:27], v[34:35], v[36:37]
	global_load_dwordx4 v[24:27], v[16:17], off offset:144
	global_load_dwordx4 v[34:37], v[16:17], off offset:128
	;; [unrolled: 1-line block ×3, first 2 shown]
	s_waitcnt vmcnt(3)
	v_mul_f64 v[16:17], v[6:7], v[22:23]
	v_fma_f64 v[16:17], v[2:3], v[20:21], -v[16:17]
	v_mul_f64 v[2:3], v[2:3], v[22:23]
	v_mad_u64_u32 v[22:23], s[0:1], s4, v30, 0
	s_mov_b32 s4, 0xe976ee23
	s_mov_b32 s5, 0xbfe11646
	v_add3_u32 v23, v23, v31, v51
	s_waitcnt vmcnt(0)
	v_mul_f64 v[30:31], v[18:19], v[41:42]
	s_mov_b32 s0, 0x37c3f68c
	v_fma_f64 v[2:3], v[6:7], v[20:21], v[2:3]
	v_mul_f64 v[6:7], v[14:15], v[26:27]
	v_mul_f64 v[20:21], v[12:13], v[36:37]
	;; [unrolled: 1-line block ×4, first 2 shown]
	s_mov_b32 s1, 0x3fdc38aa
	v_fma_f64 v[6:7], v[10:11], v[24:25], -v[6:7]
	v_mul_f64 v[10:11], v[4:5], v[41:42]
	v_fma_f64 v[8:9], v[8:9], v[34:35], -v[20:21]
	v_fma_f64 v[4:5], v[4:5], v[39:40], -v[30:31]
	v_fma_f64 v[14:15], v[14:15], v[24:25], v[26:27]
	v_fma_f64 v[12:13], v[12:13], v[34:35], v[36:37]
	v_mad_u64_u32 v[41:42], s[18:19], s20, v38, 0
	v_add_f64 v[24:25], v[6:7], -v[16:17]
	v_fma_f64 v[10:11], v[18:19], v[39:40], v[10:11]
	v_add_f64 v[6:7], v[6:7], v[16:17]
	v_add_f64 v[26:27], v[8:9], -v[4:5]
	v_add_f64 v[34:35], v[14:15], v[2:3]
	v_add_f64 v[4:5], v[8:9], v[4:5]
	v_mov_b32_e32 v20, v42
	v_mad_u64_u32 v[18:19], s[18:19], s21, v38, v[20:21]
	v_add_f64 v[36:37], v[12:13], v[10:11]
	v_add_f64 v[19:20], v[43:44], -v[45:46]
	v_add_f64 v[30:31], v[49:50], v[47:48]
	v_add_f64 v[39:40], v[43:44], v[45:46]
	v_add_f64 v[8:9], v[49:50], -v[47:48]
	v_add_f64 v[2:3], v[14:15], -v[2:3]
	v_add_f64 v[50:51], v[6:7], v[4:5]
	v_add_f64 v[10:11], v[12:13], -v[10:11]
	v_add_f64 v[44:45], v[34:35], v[36:37]
	v_add_f64 v[14:15], v[19:20], -v[24:25]
	v_add_f64 v[42:43], v[36:37], -v[30:31]
	;; [unrolled: 1-line block ×3, first 2 shown]
	v_add_f64 v[12:13], v[19:20], v[24:25]
	v_add_f64 v[54:55], v[8:9], -v[2:3]
	v_add_f64 v[16:17], v[26:27], -v[19:20]
	;; [unrolled: 1-line block ×5, first 2 shown]
	v_add_f64 v[30:31], v[30:31], v[44:45]
	v_add_f64 v[39:40], v[39:40], v[50:51]
	;; [unrolled: 1-line block ×3, first 2 shown]
	v_add_f64 v[4:5], v[6:7], -v[4:5]
	v_add_f64 v[6:7], v[2:3], -v[10:11]
	;; [unrolled: 1-line block ×4, first 2 shown]
	v_mul_f64 v[14:15], v[14:15], s[4:5]
	v_mul_f64 v[36:37], v[42:43], s[12:13]
	;; [unrolled: 1-line block ×4, first 2 shown]
	v_add_f64 v[12:13], v[12:13], v[26:27]
	v_mul_f64 v[26:27], v[19:20], s[6:7]
	v_mul_f64 v[42:43], v[46:47], s[6:7]
	;; [unrolled: 1-line block ×3, first 2 shown]
	v_add_f64 v[2:3], v[32:33], v[30:31]
	v_add_f64 v[0:1], v[0:1], v[39:40]
	;; [unrolled: 1-line block ×3, first 2 shown]
	v_mul_f64 v[52:53], v[6:7], s[14:15]
	v_fma_f64 v[54:55], v[16:17], s[2:3], v[14:15]
	v_fma_f64 v[19:20], v[19:20], s[6:7], v[36:37]
	;; [unrolled: 1-line block ×4, first 2 shown]
	s_mov_b32 s3, 0xbfd5d0dc
	v_fma_f64 v[36:37], v[34:35], s[16:17], -v[36:37]
	v_fma_f64 v[44:45], v[4:5], s[16:17], -v[44:45]
	s_mov_b32 s17, 0x3fe77f67
	v_fma_f64 v[14:15], v[24:25], s[14:15], -v[14:15]
	v_fma_f64 v[6:7], v[6:7], s[14:15], -v[48:49]
	;; [unrolled: 1-line block ×5, first 2 shown]
	v_fma_f64 v[26:27], v[30:31], s[8:9], v[2:3]
	v_fma_f64 v[30:31], v[39:40], s[8:9], v[0:1]
	v_fma_f64 v[8:9], v[8:9], s[2:3], -v[52:53]
	v_fma_f64 v[34:35], v[12:13], s[0:1], v[54:55]
	v_fma_f64 v[39:40], v[10:11], s[0:1], v[46:47]
	v_fma_f64 v[46:47], v[12:13], s[0:1], v[14:15]
	v_fma_f64 v[48:49], v[10:11], s[0:1], v[6:7]
	v_fma_f64 v[50:51], v[12:13], s[0:1], v[16:17]
	v_add_f64 v[54:55], v[19:20], v[26:27]
	v_add_f64 v[32:33], v[32:33], v[30:31]
	;; [unrolled: 1-line block ×6, first 2 shown]
	v_lshlrev_b64 v[30:31], 4, v[22:23]
	v_fma_f64 v[52:53], v[10:11], s[0:1], v[8:9]
	v_add_co_u32_e32 v30, vcc, s10, v30
	v_addc_co_u32_e32 v31, vcc, v56, v31, vcc
	v_mov_b32_e32 v42, v18
	v_add_f64 v[6:7], v[34:35], v[54:55]
	v_add_f64 v[4:5], v[32:33], -v[39:40]
	v_add_f64 v[14:15], v[16:17], -v[46:47]
	v_add_f64 v[12:13], v[48:49], v[24:25]
	v_add_f64 v[18:19], v[46:47], v[16:17]
	v_add_f64 v[16:17], v[24:25], -v[48:49]
	v_add_f64 v[26:27], v[54:55], -v[34:35]
	v_add_f64 v[24:25], v[39:40], v[32:33]
	v_add_co_u32_e32 v34, vcc, v30, v28
	v_add_u32_e32 v32, 10, v38
	v_addc_co_u32_e32 v35, vcc, v31, v29, vcc
	v_mad_u64_u32 v[30:31], s[0:1], s20, v32, 0
	v_add_f64 v[10:11], v[50:51], v[20:21]
	v_add_f64 v[8:9], v[36:37], -v[52:53]
	v_add_f64 v[22:23], v[20:21], -v[50:51]
	v_add_f64 v[20:21], v[52:53], v[36:37]
	v_mad_u64_u32 v[31:32], s[0:1], s21, v32, v[31:32]
	v_add_u32_e32 v36, 20, v38
	v_lshlrev_b64 v[28:29], 4, v[41:42]
	v_mad_u64_u32 v[32:33], s[0:1], s20, v36, 0
	v_add_co_u32_e32 v28, vcc, v34, v28
	v_addc_co_u32_e32 v29, vcc, v35, v29, vcc
	global_store_dwordx4 v[28:29], v[0:3], off
	s_nop 0
	v_lshlrev_b64 v[0:1], 4, v[30:31]
	v_mov_b32_e32 v2, v33
	v_mad_u64_u32 v[2:3], s[0:1], s21, v36, v[2:3]
	v_add_co_u32_e32 v0, vcc, v34, v0
	v_addc_co_u32_e32 v1, vcc, v35, v1, vcc
	global_store_dwordx4 v[0:1], v[24:27], off
	v_mov_b32_e32 v33, v2
	v_add_u32_e32 v24, 30, v38
	v_mad_u64_u32 v[2:3], s[0:1], s20, v24, 0
	v_add_u32_e32 v27, 40, v38
	v_lshlrev_b64 v[0:1], 4, v[32:33]
	v_mad_u64_u32 v[24:25], s[0:1], s21, v24, v[3:4]
	v_mad_u64_u32 v[25:26], s[0:1], s20, v27, 0
	v_add_co_u32_e32 v0, vcc, v34, v0
	v_addc_co_u32_e32 v1, vcc, v35, v1, vcc
	v_mov_b32_e32 v3, v24
	global_store_dwordx4 v[0:1], v[20:23], off
	v_lshlrev_b64 v[0:1], 4, v[2:3]
	v_mov_b32_e32 v2, v26
	v_mad_u64_u32 v[2:3], s[0:1], s21, v27, v[2:3]
	v_add_co_u32_e32 v0, vcc, v34, v0
	v_addc_co_u32_e32 v1, vcc, v35, v1, vcc
	global_store_dwordx4 v[0:1], v[16:19], off
	v_mov_b32_e32 v26, v2
	v_add_u32_e32 v16, 50, v38
	v_mad_u64_u32 v[2:3], s[0:1], s20, v16, 0
	v_add_u32_e32 v19, 60, v38
	v_lshlrev_b64 v[0:1], 4, v[25:26]
	v_mad_u64_u32 v[16:17], s[0:1], s21, v16, v[3:4]
	v_mad_u64_u32 v[17:18], s[0:1], s20, v19, 0
	v_add_co_u32_e32 v0, vcc, v34, v0
	v_addc_co_u32_e32 v1, vcc, v35, v1, vcc
	v_mov_b32_e32 v3, v16
	global_store_dwordx4 v[0:1], v[12:15], off
	v_lshlrev_b64 v[0:1], 4, v[2:3]
	v_mov_b32_e32 v2, v18
	v_mad_u64_u32 v[2:3], s[0:1], s21, v19, v[2:3]
	v_add_co_u32_e32 v0, vcc, v34, v0
	v_addc_co_u32_e32 v1, vcc, v35, v1, vcc
	v_mov_b32_e32 v18, v2
	global_store_dwordx4 v[0:1], v[8:11], off
	v_lshlrev_b64 v[0:1], 4, v[17:18]
	v_add_co_u32_e32 v0, vcc, v34, v0
	v_addc_co_u32_e32 v1, vcc, v35, v1, vcc
	global_store_dwordx4 v[0:1], v[4:7], off
.LBB0_24:
	s_endpgm
	.section	.rodata,"a",@progbits
	.p2align	6, 0x0
	.amdhsa_kernel fft_rtc_fwd_len70_factors_2_5_7_wgs_252_tpt_14_halfLds_dp_op_CI_CI_sbrr_dirReg
		.amdhsa_group_segment_fixed_size 0
		.amdhsa_private_segment_fixed_size 0
		.amdhsa_kernarg_size 104
		.amdhsa_user_sgpr_count 6
		.amdhsa_user_sgpr_private_segment_buffer 1
		.amdhsa_user_sgpr_dispatch_ptr 0
		.amdhsa_user_sgpr_queue_ptr 0
		.amdhsa_user_sgpr_kernarg_segment_ptr 1
		.amdhsa_user_sgpr_dispatch_id 0
		.amdhsa_user_sgpr_flat_scratch_init 0
		.amdhsa_user_sgpr_private_segment_size 0
		.amdhsa_uses_dynamic_stack 0
		.amdhsa_system_sgpr_private_segment_wavefront_offset 0
		.amdhsa_system_sgpr_workgroup_id_x 1
		.amdhsa_system_sgpr_workgroup_id_y 0
		.amdhsa_system_sgpr_workgroup_id_z 0
		.amdhsa_system_sgpr_workgroup_info 0
		.amdhsa_system_vgpr_workitem_id 0
		.amdhsa_next_free_vgpr 59
		.amdhsa_next_free_sgpr 32
		.amdhsa_reserve_vcc 1
		.amdhsa_reserve_flat_scratch 0
		.amdhsa_float_round_mode_32 0
		.amdhsa_float_round_mode_16_64 0
		.amdhsa_float_denorm_mode_32 3
		.amdhsa_float_denorm_mode_16_64 3
		.amdhsa_dx10_clamp 1
		.amdhsa_ieee_mode 1
		.amdhsa_fp16_overflow 0
		.amdhsa_exception_fp_ieee_invalid_op 0
		.amdhsa_exception_fp_denorm_src 0
		.amdhsa_exception_fp_ieee_div_zero 0
		.amdhsa_exception_fp_ieee_overflow 0
		.amdhsa_exception_fp_ieee_underflow 0
		.amdhsa_exception_fp_ieee_inexact 0
		.amdhsa_exception_int_div_zero 0
	.end_amdhsa_kernel
	.text
.Lfunc_end0:
	.size	fft_rtc_fwd_len70_factors_2_5_7_wgs_252_tpt_14_halfLds_dp_op_CI_CI_sbrr_dirReg, .Lfunc_end0-fft_rtc_fwd_len70_factors_2_5_7_wgs_252_tpt_14_halfLds_dp_op_CI_CI_sbrr_dirReg
                                        ; -- End function
	.section	.AMDGPU.csdata,"",@progbits
; Kernel info:
; codeLenInByte = 4524
; NumSgprs: 36
; NumVgprs: 59
; ScratchSize: 0
; MemoryBound: 1
; FloatMode: 240
; IeeeMode: 1
; LDSByteSize: 0 bytes/workgroup (compile time only)
; SGPRBlocks: 4
; VGPRBlocks: 14
; NumSGPRsForWavesPerEU: 36
; NumVGPRsForWavesPerEU: 59
; Occupancy: 4
; WaveLimiterHint : 1
; COMPUTE_PGM_RSRC2:SCRATCH_EN: 0
; COMPUTE_PGM_RSRC2:USER_SGPR: 6
; COMPUTE_PGM_RSRC2:TRAP_HANDLER: 0
; COMPUTE_PGM_RSRC2:TGID_X_EN: 1
; COMPUTE_PGM_RSRC2:TGID_Y_EN: 0
; COMPUTE_PGM_RSRC2:TGID_Z_EN: 0
; COMPUTE_PGM_RSRC2:TIDIG_COMP_CNT: 0
	.type	__hip_cuid_3fc7d46a566b05e3,@object ; @__hip_cuid_3fc7d46a566b05e3
	.section	.bss,"aw",@nobits
	.globl	__hip_cuid_3fc7d46a566b05e3
__hip_cuid_3fc7d46a566b05e3:
	.byte	0                               ; 0x0
	.size	__hip_cuid_3fc7d46a566b05e3, 1

	.ident	"AMD clang version 19.0.0git (https://github.com/RadeonOpenCompute/llvm-project roc-6.4.0 25133 c7fe45cf4b819c5991fe208aaa96edf142730f1d)"
	.section	".note.GNU-stack","",@progbits
	.addrsig
	.addrsig_sym __hip_cuid_3fc7d46a566b05e3
	.amdgpu_metadata
---
amdhsa.kernels:
  - .args:
      - .actual_access:  read_only
        .address_space:  global
        .offset:         0
        .size:           8
        .value_kind:     global_buffer
      - .offset:         8
        .size:           8
        .value_kind:     by_value
      - .actual_access:  read_only
        .address_space:  global
        .offset:         16
        .size:           8
        .value_kind:     global_buffer
      - .actual_access:  read_only
        .address_space:  global
        .offset:         24
        .size:           8
        .value_kind:     global_buffer
      - .actual_access:  read_only
        .address_space:  global
        .offset:         32
        .size:           8
        .value_kind:     global_buffer
      - .offset:         40
        .size:           8
        .value_kind:     by_value
      - .actual_access:  read_only
        .address_space:  global
        .offset:         48
        .size:           8
        .value_kind:     global_buffer
      - .actual_access:  read_only
        .address_space:  global
        .offset:         56
        .size:           8
        .value_kind:     global_buffer
      - .offset:         64
        .size:           4
        .value_kind:     by_value
      - .actual_access:  read_only
        .address_space:  global
        .offset:         72
        .size:           8
        .value_kind:     global_buffer
      - .actual_access:  read_only
        .address_space:  global
        .offset:         80
        .size:           8
        .value_kind:     global_buffer
      - .actual_access:  read_only
        .address_space:  global
        .offset:         88
        .size:           8
        .value_kind:     global_buffer
      - .actual_access:  write_only
        .address_space:  global
        .offset:         96
        .size:           8
        .value_kind:     global_buffer
    .group_segment_fixed_size: 0
    .kernarg_segment_align: 8
    .kernarg_segment_size: 104
    .language:       OpenCL C
    .language_version:
      - 2
      - 0
    .max_flat_workgroup_size: 252
    .name:           fft_rtc_fwd_len70_factors_2_5_7_wgs_252_tpt_14_halfLds_dp_op_CI_CI_sbrr_dirReg
    .private_segment_fixed_size: 0
    .sgpr_count:     36
    .sgpr_spill_count: 0
    .symbol:         fft_rtc_fwd_len70_factors_2_5_7_wgs_252_tpt_14_halfLds_dp_op_CI_CI_sbrr_dirReg.kd
    .uniform_work_group_size: 1
    .uses_dynamic_stack: false
    .vgpr_count:     59
    .vgpr_spill_count: 0
    .wavefront_size: 64
amdhsa.target:   amdgcn-amd-amdhsa--gfx906
amdhsa.version:
  - 1
  - 2
...

	.end_amdgpu_metadata
